;; amdgpu-corpus repo=ROCm/rocFFT kind=compiled arch=gfx1030 opt=O3
	.text
	.amdgcn_target "amdgcn-amd-amdhsa--gfx1030"
	.amdhsa_code_object_version 6
	.protected	fft_rtc_fwd_len1350_factors_5_10_3_3_3_wgs_135_tpt_135_halfLds_sp_ip_CI_unitstride_sbrr_C2R_dirReg ; -- Begin function fft_rtc_fwd_len1350_factors_5_10_3_3_3_wgs_135_tpt_135_halfLds_sp_ip_CI_unitstride_sbrr_C2R_dirReg
	.globl	fft_rtc_fwd_len1350_factors_5_10_3_3_3_wgs_135_tpt_135_halfLds_sp_ip_CI_unitstride_sbrr_C2R_dirReg
	.p2align	8
	.type	fft_rtc_fwd_len1350_factors_5_10_3_3_3_wgs_135_tpt_135_halfLds_sp_ip_CI_unitstride_sbrr_C2R_dirReg,@function
fft_rtc_fwd_len1350_factors_5_10_3_3_3_wgs_135_tpt_135_halfLds_sp_ip_CI_unitstride_sbrr_C2R_dirReg: ; @fft_rtc_fwd_len1350_factors_5_10_3_3_3_wgs_135_tpt_135_halfLds_sp_ip_CI_unitstride_sbrr_C2R_dirReg
; %bb.0:
	s_clause 0x2
	s_load_dwordx4 s[8:11], s[4:5], 0x0
	s_load_dwordx2 s[2:3], s[4:5], 0x50
	s_load_dwordx2 s[12:13], s[4:5], 0x18
	v_mul_u32_u24_e32 v1, 0x1e6, v0
	v_mov_b32_e32 v3, 0
	v_add_nc_u32_sdwa v5, s6, v1 dst_sel:DWORD dst_unused:UNUSED_PAD src0_sel:DWORD src1_sel:WORD_1
	v_mov_b32_e32 v1, 0
	v_mov_b32_e32 v6, v3
	v_mov_b32_e32 v2, 0
	s_waitcnt lgkmcnt(0)
	v_cmp_lt_u64_e64 s0, s[10:11], 2
	s_and_b32 vcc_lo, exec_lo, s0
	s_cbranch_vccnz .LBB0_8
; %bb.1:
	s_load_dwordx2 s[0:1], s[4:5], 0x10
	v_mov_b32_e32 v1, 0
	s_add_u32 s6, s12, 8
	v_mov_b32_e32 v2, 0
	s_addc_u32 s7, s13, 0
	s_mov_b64 s[16:17], 1
	s_waitcnt lgkmcnt(0)
	s_add_u32 s14, s0, 8
	s_addc_u32 s15, s1, 0
.LBB0_2:                                ; =>This Inner Loop Header: Depth=1
	s_load_dwordx2 s[18:19], s[14:15], 0x0
                                        ; implicit-def: $vgpr7_vgpr8
	s_mov_b32 s0, exec_lo
	s_waitcnt lgkmcnt(0)
	v_or_b32_e32 v4, s19, v6
	v_cmpx_ne_u64_e32 0, v[3:4]
	s_xor_b32 s1, exec_lo, s0
	s_cbranch_execz .LBB0_4
; %bb.3:                                ;   in Loop: Header=BB0_2 Depth=1
	v_cvt_f32_u32_e32 v4, s18
	v_cvt_f32_u32_e32 v7, s19
	s_sub_u32 s0, 0, s18
	s_subb_u32 s20, 0, s19
	v_fmac_f32_e32 v4, 0x4f800000, v7
	v_rcp_f32_e32 v4, v4
	v_mul_f32_e32 v4, 0x5f7ffffc, v4
	v_mul_f32_e32 v7, 0x2f800000, v4
	v_trunc_f32_e32 v7, v7
	v_fmac_f32_e32 v4, 0xcf800000, v7
	v_cvt_u32_f32_e32 v7, v7
	v_cvt_u32_f32_e32 v4, v4
	v_mul_lo_u32 v8, s0, v7
	v_mul_hi_u32 v9, s0, v4
	v_mul_lo_u32 v10, s20, v4
	v_add_nc_u32_e32 v8, v9, v8
	v_mul_lo_u32 v9, s0, v4
	v_add_nc_u32_e32 v8, v8, v10
	v_mul_hi_u32 v10, v4, v9
	v_mul_lo_u32 v11, v4, v8
	v_mul_hi_u32 v12, v4, v8
	v_mul_hi_u32 v13, v7, v9
	v_mul_lo_u32 v9, v7, v9
	v_mul_hi_u32 v14, v7, v8
	v_mul_lo_u32 v8, v7, v8
	v_add_co_u32 v10, vcc_lo, v10, v11
	v_add_co_ci_u32_e32 v11, vcc_lo, 0, v12, vcc_lo
	v_add_co_u32 v9, vcc_lo, v10, v9
	v_add_co_ci_u32_e32 v9, vcc_lo, v11, v13, vcc_lo
	v_add_co_ci_u32_e32 v10, vcc_lo, 0, v14, vcc_lo
	v_add_co_u32 v8, vcc_lo, v9, v8
	v_add_co_ci_u32_e32 v9, vcc_lo, 0, v10, vcc_lo
	v_add_co_u32 v4, vcc_lo, v4, v8
	v_add_co_ci_u32_e32 v7, vcc_lo, v7, v9, vcc_lo
	v_mul_hi_u32 v8, s0, v4
	v_mul_lo_u32 v10, s20, v4
	v_mul_lo_u32 v9, s0, v7
	v_add_nc_u32_e32 v8, v8, v9
	v_mul_lo_u32 v9, s0, v4
	v_add_nc_u32_e32 v8, v8, v10
	v_mul_hi_u32 v10, v4, v9
	v_mul_lo_u32 v11, v4, v8
	v_mul_hi_u32 v12, v4, v8
	v_mul_hi_u32 v13, v7, v9
	v_mul_lo_u32 v9, v7, v9
	v_mul_hi_u32 v14, v7, v8
	v_mul_lo_u32 v8, v7, v8
	v_add_co_u32 v10, vcc_lo, v10, v11
	v_add_co_ci_u32_e32 v11, vcc_lo, 0, v12, vcc_lo
	v_add_co_u32 v9, vcc_lo, v10, v9
	v_add_co_ci_u32_e32 v9, vcc_lo, v11, v13, vcc_lo
	v_add_co_ci_u32_e32 v10, vcc_lo, 0, v14, vcc_lo
	v_add_co_u32 v8, vcc_lo, v9, v8
	v_add_co_ci_u32_e32 v9, vcc_lo, 0, v10, vcc_lo
	v_add_co_u32 v4, vcc_lo, v4, v8
	v_add_co_ci_u32_e32 v11, vcc_lo, v7, v9, vcc_lo
	v_mul_hi_u32 v13, v5, v4
	v_mad_u64_u32 v[9:10], null, v6, v4, 0
	v_mad_u64_u32 v[7:8], null, v5, v11, 0
	;; [unrolled: 1-line block ×3, first 2 shown]
	v_add_co_u32 v4, vcc_lo, v13, v7
	v_add_co_ci_u32_e32 v7, vcc_lo, 0, v8, vcc_lo
	v_add_co_u32 v4, vcc_lo, v4, v9
	v_add_co_ci_u32_e32 v4, vcc_lo, v7, v10, vcc_lo
	v_add_co_ci_u32_e32 v7, vcc_lo, 0, v12, vcc_lo
	v_add_co_u32 v4, vcc_lo, v4, v11
	v_add_co_ci_u32_e32 v9, vcc_lo, 0, v7, vcc_lo
	v_mul_lo_u32 v10, s19, v4
	v_mad_u64_u32 v[7:8], null, s18, v4, 0
	v_mul_lo_u32 v11, s18, v9
	v_sub_co_u32 v7, vcc_lo, v5, v7
	v_add3_u32 v8, v8, v11, v10
	v_sub_nc_u32_e32 v10, v6, v8
	v_subrev_co_ci_u32_e64 v10, s0, s19, v10, vcc_lo
	v_add_co_u32 v11, s0, v4, 2
	v_add_co_ci_u32_e64 v12, s0, 0, v9, s0
	v_sub_co_u32 v13, s0, v7, s18
	v_sub_co_ci_u32_e32 v8, vcc_lo, v6, v8, vcc_lo
	v_subrev_co_ci_u32_e64 v10, s0, 0, v10, s0
	v_cmp_le_u32_e32 vcc_lo, s18, v13
	v_cmp_eq_u32_e64 s0, s19, v8
	v_cndmask_b32_e64 v13, 0, -1, vcc_lo
	v_cmp_le_u32_e32 vcc_lo, s19, v10
	v_cndmask_b32_e64 v14, 0, -1, vcc_lo
	v_cmp_le_u32_e32 vcc_lo, s18, v7
	;; [unrolled: 2-line block ×3, first 2 shown]
	v_cndmask_b32_e64 v15, 0, -1, vcc_lo
	v_cmp_eq_u32_e32 vcc_lo, s19, v10
	v_cndmask_b32_e64 v7, v15, v7, s0
	v_cndmask_b32_e32 v10, v14, v13, vcc_lo
	v_add_co_u32 v13, vcc_lo, v4, 1
	v_add_co_ci_u32_e32 v14, vcc_lo, 0, v9, vcc_lo
	v_cmp_ne_u32_e32 vcc_lo, 0, v10
	v_cndmask_b32_e32 v8, v14, v12, vcc_lo
	v_cndmask_b32_e32 v10, v13, v11, vcc_lo
	v_cmp_ne_u32_e32 vcc_lo, 0, v7
	v_cndmask_b32_e32 v8, v9, v8, vcc_lo
	v_cndmask_b32_e32 v7, v4, v10, vcc_lo
.LBB0_4:                                ;   in Loop: Header=BB0_2 Depth=1
	s_andn2_saveexec_b32 s0, s1
	s_cbranch_execz .LBB0_6
; %bb.5:                                ;   in Loop: Header=BB0_2 Depth=1
	v_cvt_f32_u32_e32 v4, s18
	s_sub_i32 s1, 0, s18
	v_rcp_iflag_f32_e32 v4, v4
	v_mul_f32_e32 v4, 0x4f7ffffe, v4
	v_cvt_u32_f32_e32 v4, v4
	v_mul_lo_u32 v7, s1, v4
	v_mul_hi_u32 v7, v4, v7
	v_add_nc_u32_e32 v4, v4, v7
	v_mul_hi_u32 v4, v5, v4
	v_mul_lo_u32 v7, v4, s18
	v_add_nc_u32_e32 v8, 1, v4
	v_sub_nc_u32_e32 v7, v5, v7
	v_subrev_nc_u32_e32 v9, s18, v7
	v_cmp_le_u32_e32 vcc_lo, s18, v7
	v_cndmask_b32_e32 v7, v7, v9, vcc_lo
	v_cndmask_b32_e32 v4, v4, v8, vcc_lo
	v_cmp_le_u32_e32 vcc_lo, s18, v7
	v_add_nc_u32_e32 v8, 1, v4
	v_cndmask_b32_e32 v7, v4, v8, vcc_lo
	v_mov_b32_e32 v8, v3
.LBB0_6:                                ;   in Loop: Header=BB0_2 Depth=1
	s_or_b32 exec_lo, exec_lo, s0
	s_load_dwordx2 s[0:1], s[6:7], 0x0
	v_mul_lo_u32 v4, v8, s18
	v_mul_lo_u32 v11, v7, s19
	v_mad_u64_u32 v[9:10], null, v7, s18, 0
	s_add_u32 s16, s16, 1
	s_addc_u32 s17, s17, 0
	s_add_u32 s6, s6, 8
	s_addc_u32 s7, s7, 0
	;; [unrolled: 2-line block ×3, first 2 shown]
	v_add3_u32 v4, v10, v11, v4
	v_sub_co_u32 v5, vcc_lo, v5, v9
	v_sub_co_ci_u32_e32 v4, vcc_lo, v6, v4, vcc_lo
	s_waitcnt lgkmcnt(0)
	v_mul_lo_u32 v6, s1, v5
	v_mul_lo_u32 v4, s0, v4
	v_mad_u64_u32 v[1:2], null, s0, v5, v[1:2]
	v_cmp_ge_u64_e64 s0, s[16:17], s[10:11]
	s_and_b32 vcc_lo, exec_lo, s0
	v_add3_u32 v2, v6, v2, v4
	s_cbranch_vccnz .LBB0_9
; %bb.7:                                ;   in Loop: Header=BB0_2 Depth=1
	v_mov_b32_e32 v5, v7
	v_mov_b32_e32 v6, v8
	s_branch .LBB0_2
.LBB0_8:
	v_mov_b32_e32 v8, v6
	v_mov_b32_e32 v7, v5
.LBB0_9:
	s_lshl_b64 s[0:1], s[10:11], 3
	v_mul_hi_u32 v5, 0x1e573ad, v0
	s_add_u32 s0, s12, s0
	s_addc_u32 s1, s13, s1
	s_load_dwordx2 s[0:1], s[0:1], 0x0
	s_load_dwordx2 s[4:5], s[4:5], 0x20
	s_waitcnt lgkmcnt(0)
	v_mul_lo_u32 v3, s0, v8
	v_mul_lo_u32 v4, s1, v7
	v_mad_u64_u32 v[1:2], null, s0, v7, v[1:2]
	v_cmp_gt_u64_e32 vcc_lo, s[4:5], v[7:8]
	v_add3_u32 v2, v4, v2, v3
	v_mul_u32_u24_e32 v3, 0x87, v5
	v_lshlrev_b64 v[18:19], 3, v[1:2]
	v_sub_nc_u32_e32 v16, v0, v3
	s_and_saveexec_b32 s1, vcc_lo
	s_cbranch_execz .LBB0_13
; %bb.10:
	v_mov_b32_e32 v17, 0
	v_add_co_u32 v0, s0, s2, v18
	v_add_co_ci_u32_e64 v1, s0, s3, v19, s0
	v_lshlrev_b64 v[2:3], 3, v[16:17]
	v_lshl_add_u32 v26, v16, 3, 0
	s_mov_b32 s4, exec_lo
	v_add_nc_u32_e32 v27, 0x800, v26
	v_add_co_u32 v2, s0, v0, v2
	v_add_co_ci_u32_e64 v3, s0, v1, v3, s0
	v_add_nc_u32_e32 v28, 0x1000, v26
	v_add_co_u32 v4, s0, 0x800, v2
	v_add_co_ci_u32_e64 v5, s0, 0, v3, s0
	v_add_co_u32 v6, s0, 0x1000, v2
	v_add_co_ci_u32_e64 v7, s0, 0, v3, s0
	;; [unrolled: 2-line block ×3, first 2 shown]
	s_clause 0x3
	global_load_dwordx2 v[8:9], v[2:3], off
	global_load_dwordx2 v[10:11], v[2:3], off offset:1080
	global_load_dwordx2 v[12:13], v[4:5], off offset:112
	;; [unrolled: 1-line block ×3, first 2 shown]
	v_add_co_u32 v2, s0, 0x2000, v2
	v_add_co_ci_u32_e64 v3, s0, 0, v3, s0
	s_clause 0x5
	global_load_dwordx2 v[20:21], v[6:7], off offset:224
	global_load_dwordx2 v[6:7], v[6:7], off offset:1304
	;; [unrolled: 1-line block ×6, first 2 shown]
	v_add_nc_u32_e32 v29, 0x1800, v26
	v_add_nc_u32_e32 v30, 0x2000, v26
	s_waitcnt vmcnt(8)
	ds_write2_b64 v26, v[8:9], v[10:11] offset1:135
	s_waitcnt vmcnt(6)
	ds_write2_b64 v27, v[12:13], v[4:5] offset0:14 offset1:149
	s_waitcnt vmcnt(4)
	ds_write2_b64 v28, v[20:21], v[6:7] offset0:28 offset1:163
	;; [unrolled: 2-line block ×4, first 2 shown]
	v_cmpx_eq_u32_e32 0x86, v16
	s_cbranch_execz .LBB0_12
; %bb.11:
	v_add_co_u32 v0, s0, 0x2800, v0
	v_add_co_ci_u32_e64 v1, s0, 0, v1, s0
	v_mov_b32_e32 v16, 0x86
	global_load_dwordx2 v[0:1], v[0:1], off offset:560
	s_waitcnt vmcnt(0)
	ds_write_b64 v17, v[0:1] offset:10800
.LBB0_12:
	s_or_b32 exec_lo, exec_lo, s4
.LBB0_13:
	s_or_b32 exec_lo, exec_lo, s1
	v_lshlrev_b32_e32 v0, 3, v16
	s_waitcnt lgkmcnt(0)
	s_barrier
	buffer_gl0_inv
	s_add_u32 s1, s8, 0x2a08
	v_add_nc_u32_e32 v30, 0, v0
	v_sub_nc_u32_e32 v4, 0, v0
	s_addc_u32 s4, s9, 0
	s_mov_b32 s5, exec_lo
                                        ; implicit-def: $vgpr2_vgpr3
	ds_read_b32 v5, v30
	ds_read_b32 v6, v4 offset:10800
	s_waitcnt lgkmcnt(0)
	v_add_f32_e32 v0, v6, v5
	v_sub_f32_e32 v1, v5, v6
	v_cmpx_ne_u32_e32 0, v16
	s_xor_b32 s5, exec_lo, s5
	s_cbranch_execz .LBB0_15
; %bb.14:
	v_mov_b32_e32 v17, 0
	v_add_f32_e32 v7, v6, v5
	v_sub_f32_e32 v8, v5, v6
	v_lshlrev_b64 v[0:1], 3, v[16:17]
	v_add_co_u32 v0, s0, s1, v0
	v_add_co_ci_u32_e64 v1, s0, s4, v1, s0
	global_load_dwordx2 v[2:3], v[0:1], off
	ds_read_b32 v0, v4 offset:10804
	ds_read_b32 v1, v30 offset:4
	s_waitcnt lgkmcnt(0)
	v_add_f32_e32 v9, v0, v1
	v_sub_f32_e32 v0, v1, v0
	s_waitcnt vmcnt(0)
	v_fma_f32 v5, -v8, v3, v7
	v_fma_f32 v6, v9, v3, -v0
	v_fma_f32 v10, v8, v3, v7
	v_fma_f32 v1, v9, v3, v0
	v_fmac_f32_e32 v5, v2, v9
	v_fmac_f32_e32 v6, v8, v2
	v_fma_f32 v0, -v2, v9, v10
	v_fmac_f32_e32 v1, v8, v2
	v_mov_b32_e32 v2, v16
	v_mov_b32_e32 v3, v17
	ds_write_b64 v4, v[5:6] offset:10800
.LBB0_15:
	s_andn2_saveexec_b32 s0, s5
	s_cbranch_execz .LBB0_17
; %bb.16:
	v_mov_b32_e32 v7, 0
	ds_read_b64 v[2:3], v7 offset:5400
	s_waitcnt lgkmcnt(0)
	v_add_f32_e32 v5, v2, v2
	v_mul_f32_e32 v6, -2.0, v3
	v_mov_b32_e32 v2, 0
	v_mov_b32_e32 v3, 0
	ds_write_b64 v7, v[5:6] offset:5400
.LBB0_17:
	s_or_b32 exec_lo, exec_lo, s0
	v_lshlrev_b64 v[2:3], 3, v[2:3]
	v_add_nc_u32_e32 v29, 0x2000, v30
	v_lshl_add_u32 v28, v16, 5, v30
	v_add_co_u32 v2, s0, s1, v2
	v_add_co_ci_u32_e64 v3, s0, s4, v3, s0
	v_add_nc_u32_e32 v35, 0x1518, v28
	v_add_co_u32 v7, s0, 0x800, v2
	global_load_dwordx2 v[5:6], v[2:3], off offset:1080
	v_add_co_ci_u32_e64 v8, s0, 0, v3, s0
	v_add_co_u32 v2, s0, 0x1000, v2
	s_clause 0x1
	global_load_dwordx2 v[9:10], v[7:8], off offset:112
	global_load_dwordx2 v[7:8], v[7:8], off offset:1192
	v_add_co_ci_u32_e64 v3, s0, 0, v3, s0
	ds_write_b64 v30, v[0:1]
	v_add_nc_u32_e32 v36, 0x1528, v28
	v_cmp_gt_u32_e64 s0, 45, v16
	global_load_dwordx2 v[2:3], v[2:3], off offset:224
	ds_read_b64 v[0:1], v30 offset:1080
	ds_read_b64 v[11:12], v4 offset:9720
	s_waitcnt lgkmcnt(0)
	v_add_f32_e32 v13, v0, v11
	v_add_f32_e32 v14, v12, v1
	v_sub_f32_e32 v15, v0, v11
	v_sub_f32_e32 v0, v1, v12
	s_waitcnt vmcnt(3)
	v_fma_f32 v17, v15, v6, v13
	v_fma_f32 v1, v14, v6, v0
	v_fma_f32 v11, -v15, v6, v13
	v_fma_f32 v12, v14, v6, -v0
	v_fma_f32 v0, -v5, v14, v17
	v_fmac_f32_e32 v1, v15, v5
	v_fmac_f32_e32 v11, v5, v14
	;; [unrolled: 1-line block ×3, first 2 shown]
	v_and_b32_e32 v17, 0xff, v16
	ds_write_b64 v30, v[0:1] offset:1080
	ds_write_b64 v4, v[11:12] offset:9720
	ds_read_b64 v[0:1], v30 offset:2160
	ds_read_b64 v[5:6], v4 offset:8640
	v_add_nc_u32_e32 v15, 0x1800, v30
	s_waitcnt lgkmcnt(0)
	v_add_f32_e32 v11, v0, v5
	v_add_f32_e32 v12, v6, v1
	v_sub_f32_e32 v13, v0, v5
	v_sub_f32_e32 v0, v1, v6
	s_waitcnt vmcnt(2)
	v_fma_f32 v14, v13, v10, v11
	v_fma_f32 v1, v12, v10, v0
	v_fma_f32 v5, -v13, v10, v11
	v_fma_f32 v6, v12, v10, -v0
	v_fma_f32 v0, -v9, v12, v14
	v_fmac_f32_e32 v1, v13, v9
	v_fmac_f32_e32 v5, v9, v12
	;; [unrolled: 1-line block ×3, first 2 shown]
	ds_write_b64 v30, v[0:1] offset:2160
	ds_write_b64 v4, v[5:6] offset:8640
	ds_read_b64 v[0:1], v30 offset:3240
	ds_read_b64 v[5:6], v4 offset:7560
	s_waitcnt lgkmcnt(0)
	v_add_f32_e32 v9, v0, v5
	v_add_f32_e32 v10, v6, v1
	v_sub_f32_e32 v11, v0, v5
	v_sub_f32_e32 v0, v1, v6
	s_waitcnt vmcnt(1)
	v_fma_f32 v12, v11, v8, v9
	v_fma_f32 v1, v10, v8, v0
	v_fma_f32 v5, -v11, v8, v9
	v_fma_f32 v6, v10, v8, -v0
	v_add_nc_u32_e32 v8, 0x1000, v30
	v_fma_f32 v0, -v7, v10, v12
	v_fmac_f32_e32 v1, v11, v7
	v_fmac_f32_e32 v5, v7, v10
	v_fmac_f32_e32 v6, v11, v7
	ds_write_b64 v30, v[0:1] offset:3240
	ds_write_b64 v4, v[5:6] offset:7560
	ds_read_b64 v[0:1], v30 offset:4320
	ds_read_b64 v[5:6], v4 offset:6480
	s_waitcnt lgkmcnt(0)
	v_add_f32_e32 v7, v0, v5
	v_add_f32_e32 v11, v6, v1
	v_sub_f32_e32 v12, v0, v5
	v_sub_f32_e32 v1, v1, v6
	v_mul_lo_u16 v5, 0xcd, v17
	v_add_nc_u32_e32 v0, 0x800, v30
	s_waitcnt vmcnt(0)
	v_fma_f32 v13, v12, v3, v7
	v_fma_f32 v6, v11, v3, v1
	v_fma_f32 v9, -v12, v3, v7
	v_fma_f32 v10, v11, v3, -v1
	v_lshrrev_b16 v7, 10, v5
	v_fma_f32 v5, -v2, v11, v13
	v_fmac_f32_e32 v6, v12, v2
	v_fmac_f32_e32 v9, v2, v11
	;; [unrolled: 1-line block ×3, first 2 shown]
	ds_write_b64 v30, v[5:6] offset:4320
	ds_write_b64 v4, v[9:10] offset:6480
	s_waitcnt lgkmcnt(0)
	s_barrier
	buffer_gl0_inv
	s_barrier
	buffer_gl0_inv
	ds_read2_b64 v[1:4], v30 offset1:135
	ds_read2_b64 v[9:12], v0 offset0:14 offset1:149
	ds_read2_b64 v[20:23], v8 offset0:28 offset1:163
	;; [unrolled: 1-line block ×4, first 2 shown]
	v_mul_lo_u16 v13, v7, 5
	v_mov_b32_e32 v5, 9
	s_waitcnt lgkmcnt(0)
	s_barrier
	buffer_gl0_inv
	v_sub_nc_u16 v43, v16, v13
	v_mul_u32_u24_sdwa v5, v43, v5 dst_sel:DWORD dst_unused:UNUSED_PAD src0_sel:BYTE_0 src1_sel:DWORD
	v_lshlrev_b32_e32 v37, 3, v5
	v_add_f32_e32 v13, v1, v9
	v_sub_f32_e32 v6, v9, v20
	v_add_f32_e32 v5, v20, v24
	v_sub_f32_e32 v14, v31, v24
	;; [unrolled: 2-line block ×4, first 2 shown]
	v_sub_f32_e32 v9, v10, v21
	v_sub_f32_e32 v48, v32, v25
	;; [unrolled: 1-line block ×3, first 2 shown]
	v_add_f32_e32 v53, v11, v33
	v_add_f32_e32 v59, v22, v26
	;; [unrolled: 1-line block ×3, first 2 shown]
	v_sub_f32_e32 v14, v33, v26
	v_add_f32_e32 v49, v10, v32
	v_sub_f32_e32 v38, v10, v32
	v_add_f32_e32 v44, v2, v10
	;; [unrolled: 2-line block ×3, first 2 shown]
	v_sub_f32_e32 v58, v25, v32
	v_fma_f32 v5, -0.5, v5, v1
	v_fma_f32 v1, -0.5, v40, v1
	v_add_f32_e32 v40, v23, v27
	v_add_f32_e32 v55, v4, v12
	v_add_f32_e32 v57, v12, v34
	v_sub_f32_e32 v51, v12, v34
	v_sub_f32_e32 v54, v22, v11
	;; [unrolled: 1-line block ×5, first 2 shown]
	v_fma_f32 v6, -0.5, v45, v2
	v_add_f32_e32 v45, v9, v48
	v_add_f32_e32 v52, v52, v14
	v_fma_f32 v9, -0.5, v59, v3
	v_fma_f32 v3, -0.5, v53, v3
	v_sub_f32_e32 v14, v34, v27
	v_sub_f32_e32 v53, v27, v34
	;; [unrolled: 1-line block ×4, first 2 shown]
	v_fma_f32 v2, -0.5, v49, v2
	v_add_f32_e32 v13, v13, v20
	v_sub_f32_e32 v42, v24, v31
	v_add_f32_e32 v48, v10, v58
	v_add_f32_e32 v20, v44, v21
	v_add_f32_e32 v21, v50, v22
	v_fma_f32 v10, -0.5, v40, v4
	v_sub_f32_e32 v60, v23, v27
	v_sub_f32_e32 v49, v22, v26
	v_add_f32_e32 v23, v55, v23
	v_fmac_f32_e32 v4, -0.5, v57
	v_add_f32_e32 v40, v11, v14
	v_add_f32_e32 v44, v12, v53
	v_fmamk_f32 v11, v38, 0x3f737871, v5
	v_fmamk_f32 v12, v46, 0xbf737871, v6
	v_add_f32_e32 v24, v13, v24
	v_fmamk_f32 v13, v39, 0xbf737871, v1
	v_fmac_f32_e32 v1, 0x3f737871, v39
	v_fmamk_f32 v14, v47, 0x3f737871, v2
	v_fmac_f32_e32 v2, 0xbf737871, v47
	v_fmac_f32_e32 v5, 0xbf737871, v38
	;; [unrolled: 1-line block ×3, first 2 shown]
	v_add_f32_e32 v41, v41, v42
	v_sub_f32_e32 v42, v26, v33
	v_add_f32_e32 v25, v20, v25
	v_add_f32_e32 v26, v21, v26
	v_fmamk_f32 v20, v51, 0x3f737871, v9
	v_fmamk_f32 v21, v56, 0xbf737871, v10
	v_fmac_f32_e32 v9, 0xbf737871, v51
	v_fmamk_f32 v22, v60, 0xbf737871, v3
	v_fmac_f32_e32 v3, 0x3f737871, v60
	v_add_f32_e32 v27, v23, v27
	v_fmac_f32_e32 v10, 0x3f737871, v56
	v_fmamk_f32 v23, v49, 0x3f737871, v4
	v_fmac_f32_e32 v4, 0xbf737871, v49
	v_fmac_f32_e32 v11, 0x3f167918, v39
	;; [unrolled: 1-line block ×11, first 2 shown]
	v_add_f32_e32 v42, v54, v42
	v_fmac_f32_e32 v9, 0xbf167918, v60
	v_fmac_f32_e32 v22, 0x3f167918, v51
	;; [unrolled: 1-line block ×6, first 2 shown]
	v_add_f32_e32 v24, v24, v31
	v_add_f32_e32 v25, v25, v32
	v_fmac_f32_e32 v11, 0x3e9e377a, v61
	v_fmac_f32_e32 v12, 0x3e9e377a, v45
	v_fmac_f32_e32 v13, 0x3e9e377a, v41
	v_fmac_f32_e32 v1, 0x3e9e377a, v41
	v_fmac_f32_e32 v14, 0x3e9e377a, v48
	v_fmac_f32_e32 v2, 0x3e9e377a, v48
	v_fmac_f32_e32 v5, 0x3e9e377a, v61
	v_fmac_f32_e32 v6, 0x3e9e377a, v45
	v_add_f32_e32 v26, v26, v33
	v_add_f32_e32 v27, v27, v34
	v_fmac_f32_e32 v20, 0x3e9e377a, v52
	v_fmac_f32_e32 v21, 0x3e9e377a, v40
	;; [unrolled: 1-line block ×8, first 2 shown]
	ds_write2_b64 v28, v[24:25], v[11:12] offset1:1
	ds_write2_b64 v28, v[13:14], v[1:2] offset0:2 offset1:3
	ds_write_b64 v28, v[5:6] offset:32
	ds_write2_b64 v35, v[26:27], v[20:21] offset1:1
	ds_write2_b64 v36, v[22:23], v[3:4] offset1:1
	ds_write_b64 v28, v[9:10] offset:5432
	s_waitcnt lgkmcnt(0)
	s_barrier
	buffer_gl0_inv
	s_clause 0x4
	global_load_dwordx4 v[1:4], v37, s[8:9]
	global_load_dwordx4 v[9:12], v37, s[8:9] offset:16
	global_load_dwordx4 v[20:23], v37, s[8:9] offset:32
	;; [unrolled: 1-line block ×3, first 2 shown]
	global_load_dwordx2 v[5:6], v37, s[8:9] offset:64
	ds_read2_b64 v[31:34], v30 offset1:135
	ds_read2_b64 v[35:38], v0 offset0:14 offset1:149
	v_mov_b32_e32 v13, 0x190
	v_mov_b32_e32 v28, 3
	ds_read2_b64 v[39:42], v8 offset0:28 offset1:163
	ds_read2_b64 v[47:50], v29 offset0:56 offset1:191
	v_mul_u32_u24_sdwa v7, v7, v13 dst_sel:DWORD dst_unused:UNUSED_PAD src0_sel:WORD_0 src1_sel:DWORD
	v_lshlrev_b32_sdwa v13, v28, v43 dst_sel:DWORD dst_unused:UNUSED_PAD src0_sel:DWORD src1_sel:BYTE_0
	ds_read2_b64 v[43:46], v15 offset0:42 offset1:177
	v_add_nc_u32_e32 v15, 0x1c00, v30
	s_waitcnt vmcnt(0) lgkmcnt(0)
	s_barrier
	v_add3_u32 v7, 0, v7, v13
	buffer_gl0_inv
	v_mul_f32_e32 v13, v2, v34
	v_mul_f32_e32 v14, v2, v33
	;; [unrolled: 1-line block ×11, first 2 shown]
	v_fma_f32 v13, v1, v33, -v13
	v_fmac_f32_e32 v14, v1, v34
	v_fma_f32 v1, v3, v35, -v2
	v_fmac_f32_e32 v4, v3, v36
	v_mul_f32_e32 v3, v48, v27
	v_mul_f32_e32 v23, v43, v23
	;; [unrolled: 1-line block ×6, first 2 shown]
	v_fma_f32 v29, v9, v37, -v29
	v_fmac_f32_e32 v10, v9, v38
	v_mul_f32_e32 v6, v49, v6
	v_fma_f32 v9, v11, v39, -v51
	v_fmac_f32_e32 v12, v11, v40
	v_fma_f32 v11, v20, v41, -v52
	v_fmac_f32_e32 v21, v20, v42
	v_fma_f32 v20, v43, v22, -v53
	v_fma_f32 v3, v47, v26, -v3
	v_fmac_f32_e32 v23, v44, v22
	v_fma_f32 v22, v45, v24, -v54
	v_fmac_f32_e32 v2, v46, v24
	v_fmac_f32_e32 v25, v48, v26
	v_fma_f32 v24, v49, v5, -v27
	v_fmac_f32_e32 v6, v50, v5
	v_sub_f32_e32 v34, v1, v9
	v_sub_f32_e32 v35, v3, v20
	v_add_f32_e32 v26, v9, v20
	v_add_f32_e32 v36, v1, v3
	;; [unrolled: 1-line block ×3, first 2 shown]
	v_sub_f32_e32 v42, v4, v12
	v_sub_f32_e32 v43, v25, v23
	v_add_f32_e32 v46, v13, v29
	v_add_f32_e32 v47, v11, v22
	;; [unrolled: 1-line block ×8, first 2 shown]
	v_sub_f32_e32 v27, v4, v25
	v_sub_f32_e32 v33, v12, v23
	;; [unrolled: 1-line block ×4, first 2 shown]
	v_add_f32_e32 v40, v12, v23
	v_add_f32_e32 v44, v4, v25
	v_sub_f32_e32 v4, v12, v4
	v_sub_f32_e32 v48, v10, v6
	v_sub_f32_e32 v49, v21, v2
	v_sub_f32_e32 v50, v29, v11
	v_sub_f32_e32 v53, v11, v29
	v_sub_f32_e32 v29, v29, v24
	v_sub_f32_e32 v57, v11, v22
	v_sub_f32_e32 v58, v10, v21
	v_sub_f32_e32 v10, v21, v10
	v_fma_f32 v59, -0.5, v26, v31
	v_fma_f32 v26, -0.5, v36, v31
	v_add_f32_e32 v12, v39, v12
	v_add_f32_e32 v36, v42, v43
	v_add_f32_e32 v11, v46, v11
	v_fma_f32 v39, -0.5, v47, v13
	v_add_f32_e32 v21, v55, v21
	v_fma_f32 v43, -0.5, v56, v14
	v_sub_f32_e32 v45, v23, v25
	v_fmac_f32_e32 v13, -0.5, v52
	v_fmac_f32_e32 v14, -0.5, v35
	v_sub_f32_e32 v41, v9, v20
	v_sub_f32_e32 v51, v24, v22
	;; [unrolled: 1-line block ×3, first 2 shown]
	v_add_f32_e32 v5, v5, v9
	v_sub_f32_e32 v9, v6, v2
	v_add_f32_e32 v37, v37, v38
	v_sub_f32_e32 v38, v2, v6
	v_add_f32_e32 v11, v11, v22
	v_fmamk_f32 v22, v48, 0x3f737871, v39
	v_add_f32_e32 v2, v21, v2
	v_fmamk_f32 v21, v29, 0xbf737871, v43
	v_fma_f32 v31, -0.5, v40, v32
	v_fma_f32 v32, -0.5, v44, v32
	v_add_f32_e32 v4, v4, v45
	v_fmamk_f32 v44, v49, 0xbf737871, v13
	v_fmac_f32_e32 v13, 0x3f737871, v49
	v_fmamk_f32 v45, v57, 0x3f737871, v14
	v_fmac_f32_e32 v14, 0xbf737871, v57
	v_fmac_f32_e32 v39, 0xbf737871, v48
	;; [unrolled: 1-line block ×3, first 2 shown]
	v_sub_f32_e32 v1, v1, v3
	v_add_f32_e32 v40, v50, v51
	v_add_f32_e32 v9, v58, v9
	v_fmac_f32_e32 v22, 0x3f167918, v49
	v_fmac_f32_e32 v21, 0xbf167918, v57
	v_add_f32_e32 v42, v53, v54
	v_add_f32_e32 v10, v10, v38
	;; [unrolled: 1-line block ×4, first 2 shown]
	v_fmamk_f32 v38, v41, 0x3f737871, v32
	v_fmac_f32_e32 v32, 0xbf737871, v41
	v_fmac_f32_e32 v44, 0x3f167918, v48
	;; [unrolled: 1-line block ×7, first 2 shown]
	v_fmamk_f32 v20, v27, 0x3f737871, v59
	v_fmamk_f32 v35, v33, 0xbf737871, v26
	v_fmac_f32_e32 v26, 0x3f737871, v33
	v_fmamk_f32 v23, v1, 0xbf737871, v31
	v_fmac_f32_e32 v22, 0x3e9e377a, v40
	v_fmac_f32_e32 v21, 0x3e9e377a, v9
	;; [unrolled: 1-line block ×3, first 2 shown]
	v_add_f32_e32 v3, v5, v3
	v_add_f32_e32 v5, v12, v25
	v_fmac_f32_e32 v38, 0xbf167918, v1
	v_fmac_f32_e32 v32, 0x3f167918, v1
	v_add_f32_e32 v6, v2, v6
	v_fmac_f32_e32 v44, 0x3e9e377a, v42
	v_fmac_f32_e32 v13, 0x3e9e377a, v42
	;; [unrolled: 1-line block ×11, first 2 shown]
	v_add_f32_e32 v11, v11, v24
	v_mul_f32_e32 v24, 0x3f167918, v21
	v_mul_f32_e32 v27, 0xbf167918, v22
	v_fmac_f32_e32 v59, 0xbf167918, v33
	v_fmac_f32_e32 v38, 0x3e9e377a, v4
	;; [unrolled: 1-line block ×3, first 2 shown]
	v_add_f32_e32 v2, v5, v6
	v_sub_f32_e32 v4, v5, v6
	v_mul_f32_e32 v25, 0x3f737871, v45
	v_mul_f32_e32 v5, 0x3e9e377a, v13
	v_mul_f32_e32 v29, 0xbf737871, v44
	v_mul_f32_e32 v9, 0x3e9e377a, v14
	v_fmac_f32_e32 v31, 0x3f167918, v41
	v_mul_f32_e32 v6, 0x3f4f1bbd, v39
	v_mul_f32_e32 v10, 0x3f4f1bbd, v43
	v_fmac_f32_e32 v20, 0x3e9e377a, v34
	v_fmac_f32_e32 v23, 0x3e9e377a, v36
	;; [unrolled: 1-line block ×8, first 2 shown]
	v_fma_f32 v22, 0x3f737871, v14, -v5
	v_fmac_f32_e32 v29, 0x3e9e377a, v45
	v_fma_f32 v34, 0xbf737871, v13, -v9
	v_fmac_f32_e32 v31, 0x3e9e377a, v36
	v_fma_f32 v33, 0x3f167918, v43, -v6
	v_fma_f32 v36, 0xbf167918, v39, -v10
	v_add_f32_e32 v1, v3, v11
	v_add_f32_e32 v5, v20, v24
	v_add_f32_e32 v6, v23, v27
	v_sub_f32_e32 v3, v3, v11
	v_add_f32_e32 v9, v35, v25
	v_add_f32_e32 v11, v26, v22
	;; [unrolled: 1-line block ×6, first 2 shown]
	v_sub_f32_e32 v20, v20, v24
	v_sub_f32_e32 v24, v35, v25
	;; [unrolled: 1-line block ×8, first 2 shown]
	ds_write2_b64 v7, v[1:2], v[5:6] offset1:5
	ds_write2_b64 v7, v[9:10], v[11:12] offset0:10 offset1:15
	ds_write2_b64 v7, v[13:14], v[3:4] offset0:20 offset1:25
	;; [unrolled: 1-line block ×4, first 2 shown]
	s_waitcnt lgkmcnt(0)
	s_barrier
	buffer_gl0_inv
	ds_read2_b64 v[4:7], v30 offset1:135
	ds_read2_b64 v[0:3], v0 offset0:14 offset1:194
	ds_read2_b64 v[12:15], v15 offset0:4 offset1:139
	;; [unrolled: 1-line block ×3, first 2 shown]
	ds_read_b64 v[24:25], v30 offset:9360
                                        ; implicit-def: $vgpr21
                                        ; implicit-def: $vgpr27
	s_and_saveexec_b32 s1, s0
	s_cbranch_execz .LBB0_19
; %bb.18:
	ds_read_b64 v[22:23], v30 offset:3240
	ds_read_b64 v[26:27], v30 offset:6840
	;; [unrolled: 1-line block ×3, first 2 shown]
.LBB0_19:
	s_or_b32 exec_lo, exec_lo, s1
	v_add_nc_u32_e32 v32, 0x87, v16
	v_mul_lo_u16 v17, v17, 41
	v_mov_b32_e32 v29, 0x147b
	v_add_nc_u32_e32 v31, 0x10e, v16
	v_mov_b32_e32 v39, 4
	v_lshrrev_b16 v34, 1, v32
	v_lshrrev_b16 v51, 11, v17
	v_mov_b32_e32 v57, 0x4b0
	v_lshrrev_b16 v33, 1, v31
	v_mul_u32_u24_sdwa v17, v34, v29 dst_sel:DWORD dst_unused:UNUSED_PAD src0_sel:WORD_0 src1_sel:DWORD
	v_mul_lo_u16 v34, v51, 50
	v_mul_u32_u24_sdwa v51, v51, v57 dst_sel:DWORD dst_unused:UNUSED_PAD src0_sel:WORD_0 src1_sel:DWORD
	v_mul_u32_u24_sdwa v35, v33, v29 dst_sel:DWORD dst_unused:UNUSED_PAD src0_sel:WORD_0 src1_sel:DWORD
	v_lshrrev_b32_e32 v52, 17, v17
	v_add_nc_u32_e32 v17, 0x195, v16
	v_sub_nc_u16 v53, v16, v34
	v_lshrrev_b32_e32 v54, 17, v35
	v_mul_lo_u16 v35, v52, 50
	v_lshrrev_b16 v34, 1, v17
	v_lshlrev_b32_sdwa v36, v39, v53 dst_sel:DWORD dst_unused:UNUSED_PAD src0_sel:DWORD src1_sel:BYTE_0
	v_mul_lo_u16 v40, v54, 50
	v_lshlrev_b32_sdwa v53, v28, v53 dst_sel:DWORD dst_unused:UNUSED_PAD src0_sel:DWORD src1_sel:BYTE_0
	v_sub_nc_u16 v55, v32, v35
	v_mul_u32_u24_sdwa v29, v34, v29 dst_sel:DWORD dst_unused:UNUSED_PAD src0_sel:WORD_0 src1_sel:DWORD
	global_load_dwordx4 v[35:38], v36, s[8:9] offset:360
	v_sub_nc_u16 v56, v31, v40
	v_mul_u32_u24_e32 v54, 0x4b0, v54
	v_lshlrev_b32_sdwa v40, v39, v55 dst_sel:DWORD dst_unused:UNUSED_PAD src0_sel:DWORD src1_sel:WORD_0
	v_lshrrev_b32_e32 v29, 17, v29
	v_lshlrev_b32_sdwa v55, v28, v55 dst_sel:DWORD dst_unused:UNUSED_PAD src0_sel:DWORD src1_sel:WORD_0
	v_lshlrev_b32_sdwa v43, v39, v56 dst_sel:DWORD dst_unused:UNUSED_PAD src0_sel:DWORD src1_sel:WORD_0
	;; [unrolled: 1-line block ×3, first 2 shown]
	global_load_dwordx4 v[39:42], v40, s[8:9] offset:360
	v_mul_lo_u16 v29, v29, 50
	v_add3_u32 v51, 0, v51, v53
	global_load_dwordx4 v[43:46], v43, s[8:9] offset:360
	v_add3_u32 v28, 0, v54, v28
	v_mul_u32_u24_e32 v52, 0x4b0, v52
	v_sub_nc_u16 v29, v17, v29
	v_add3_u32 v52, 0, v52, v55
	v_and_b32_e32 v29, 0xffff, v29
	v_lshlrev_b32_e32 v47, 4, v29
	global_load_dwordx4 v[47:50], v47, s[8:9] offset:360
	s_waitcnt vmcnt(0) lgkmcnt(0)
	s_barrier
	buffer_gl0_inv
	v_mul_f32_e32 v53, v36, v3
	v_mul_f32_e32 v36, v36, v2
	;; [unrolled: 1-line block ×4, first 2 shown]
	v_fma_f32 v2, v35, v2, -v53
	v_fmac_f32_e32 v36, v35, v3
	v_fma_f32 v3, v37, v12, -v54
	v_fmac_f32_e32 v38, v37, v13
	v_mul_f32_e32 v37, v42, v14
	v_mul_f32_e32 v12, v40, v9
	;; [unrolled: 1-line block ×8, first 2 shown]
	v_fmac_f32_e32 v37, v41, v15
	v_add_f32_e32 v15, v2, v3
	v_add_f32_e32 v53, v4, v2
	v_fma_f32 v14, v41, v14, -v35
	v_sub_f32_e32 v35, v36, v38
	v_fma_f32 v12, v39, v8, -v12
	v_fmac_f32_e32 v13, v39, v9
	v_fma_f32 v10, v43, v10, -v40
	v_fmac_f32_e32 v46, v45, v25
	v_fma_f32 v4, -0.5, v15, v4
	v_add_f32_e32 v41, v5, v36
	v_add_f32_e32 v36, v36, v38
	v_mul_f32_e32 v8, v27, v48
	v_mul_f32_e32 v25, v26, v48
	;; [unrolled: 1-line block ×4, first 2 shown]
	v_fmac_f32_e32 v42, v43, v11
	v_fma_f32 v24, v45, v24, -v44
	v_fma_f32 v15, v26, v47, -v8
	v_fmac_f32_e32 v25, v27, v47
	v_fma_f32 v20, v20, v49, -v9
	v_fmac_f32_e32 v39, v21, v49
	v_fmamk_f32 v8, v35, 0x3f5db3d7, v4
	v_fmac_f32_e32 v4, 0xbf5db3d7, v35
	v_add_f32_e32 v11, v6, v12
	v_add_f32_e32 v21, v12, v14
	;; [unrolled: 1-line block ×3, first 2 shown]
	v_sub_f32_e32 v35, v12, v14
	v_add_f32_e32 v12, v0, v10
	v_sub_f32_e32 v54, v2, v3
	v_add_f32_e32 v2, v53, v3
	v_add_f32_e32 v3, v41, v38
	v_fma_f32 v5, -0.5, v36, v5
	v_add_f32_e32 v36, v10, v24
	v_sub_f32_e32 v38, v42, v46
	v_add_f32_e32 v40, v1, v42
	v_add_f32_e32 v41, v42, v46
	v_sub_f32_e32 v42, v10, v24
	v_add_f32_e32 v10, v11, v14
	v_fma_f32 v6, -0.5, v21, v6
	v_add_f32_e32 v11, v27, v37
	v_add_f32_e32 v12, v12, v24
	;; [unrolled: 1-line block ×3, first 2 shown]
	v_sub_f32_e32 v27, v25, v39
	v_add_f32_e32 v24, v23, v25
	v_add_f32_e32 v25, v25, v39
	v_sub_f32_e32 v26, v13, v37
	v_add_f32_e32 v13, v13, v37
	v_add_f32_e32 v14, v22, v15
	v_sub_f32_e32 v15, v15, v20
	v_fmac_f32_e32 v22, -0.5, v21
	v_fmac_f32_e32 v23, -0.5, v25
	v_fmamk_f32 v9, v54, 0xbf5db3d7, v5
	v_fmac_f32_e32 v7, -0.5, v13
	v_fma_f32 v0, -0.5, v36, v0
	v_fmac_f32_e32 v1, -0.5, v41
	v_fmac_f32_e32 v5, 0x3f5db3d7, v54
	v_add_f32_e32 v20, v14, v20
	v_add_f32_e32 v21, v24, v39
	v_fmamk_f32 v24, v27, 0x3f5db3d7, v22
	v_fmac_f32_e32 v22, 0xbf5db3d7, v27
	v_fmamk_f32 v25, v15, 0xbf5db3d7, v23
	v_fmac_f32_e32 v23, 0x3f5db3d7, v15
	ds_write2_b64 v51, v[2:3], v[8:9] offset1:50
	v_fmamk_f32 v2, v26, 0x3f5db3d7, v6
	v_fmamk_f32 v3, v35, 0xbf5db3d7, v7
	v_fmac_f32_e32 v6, 0xbf5db3d7, v26
	v_fmac_f32_e32 v7, 0x3f5db3d7, v35
	v_add_f32_e32 v13, v40, v46
	v_fmamk_f32 v8, v38, 0x3f5db3d7, v0
	v_fmamk_f32 v9, v42, 0xbf5db3d7, v1
	v_fmac_f32_e32 v0, 0xbf5db3d7, v38
	v_fmac_f32_e32 v1, 0x3f5db3d7, v42
	ds_write_b64 v51, v[4:5] offset:800
	ds_write2_b64 v52, v[10:11], v[2:3] offset1:50
	ds_write_b64 v52, v[6:7] offset:800
	ds_write2_b64 v28, v[12:13], v[8:9] offset1:50
	ds_write_b64 v28, v[0:1] offset:800
	s_and_saveexec_b32 s1, s0
	s_cbranch_execz .LBB0_21
; %bb.20:
	v_lshl_add_u32 v0, v29, 3, 0
	v_add_nc_u32_e32 v1, 0x2000, v0
	ds_write2_b64 v1, v[20:21], v[24:25] offset0:176 offset1:226
	ds_write_b64 v0, v[22:23] offset:10400
.LBB0_21:
	s_or_b32 exec_lo, exec_lo, s1
	v_add_nc_u32_e32 v0, 0x800, v30
	v_add_nc_u32_e32 v8, 0x1c00, v30
	;; [unrolled: 1-line block ×3, first 2 shown]
	s_waitcnt lgkmcnt(0)
	s_barrier
	buffer_gl0_inv
	ds_read2_b64 v[4:7], v30 offset1:135
	ds_read2_b64 v[0:3], v0 offset0:14 offset1:194
	ds_read2_b64 v[12:15], v8 offset0:4 offset1:139
	;; [unrolled: 1-line block ×3, first 2 shown]
	ds_read_b64 v[28:29], v30 offset:9360
	s_and_saveexec_b32 s1, s0
	s_cbranch_execz .LBB0_23
; %bb.22:
	ds_read_b64 v[20:21], v30 offset:3240
	ds_read_b64 v[24:25], v30 offset:6840
	ds_read_b64 v[22:23], v30 offset:10440
.LBB0_23:
	s_or_b32 exec_lo, exec_lo, s1
	v_mov_b32_e32 v41, 0xda75
	v_add_nc_u32_e32 v26, -15, v16
	v_cmp_gt_u32_e64 s1, 15, v16
	v_lshlrev_b32_e32 v35, 1, v16
	v_mov_b32_e32 v36, 0
	v_mul_u32_u24_sdwa v33, v33, v41 dst_sel:DWORD dst_unused:UNUSED_PAD src0_sel:WORD_0 src1_sel:DWORD
	v_mul_u32_u24_sdwa v34, v34, v41 dst_sel:DWORD dst_unused:UNUSED_PAD src0_sel:WORD_0 src1_sel:DWORD
	v_cndmask_b32_e64 v51, v26, v32, s1
	v_mov_b32_e32 v43, 4
	v_lshlrev_b64 v[26:27], 3, v[35:36]
	v_lshrrev_b32_e32 v52, 22, v33
	v_lshlrev_b32_e32 v35, 1, v51
	v_lshlrev_b32_e32 v51, 3, v51
	v_add_co_u32 v26, s1, s8, v26
	v_mul_lo_u16 v33, 0x96, v52
	v_lshlrev_b64 v[39:40], 3, v[35:36]
	v_add_co_ci_u32_e64 v27, s1, s9, v27, s1
	v_mul_u32_u24_e32 v52, 0xe10, v52
	v_sub_nc_u16 v53, v31, v33
	v_lshrrev_b32_e32 v33, 22, v34
	v_add_co_u32 v39, s1, s8, v39
	global_load_dwordx4 v[35:38], v[26:27], off offset:1160
	v_add_co_ci_u32_e64 v40, s1, s9, v40, s1
	v_mul_lo_u16 v33, 0x96, v33
	v_lshlrev_b32_sdwa v34, v43, v53 dst_sel:DWORD dst_unused:UNUSED_PAD src0_sel:DWORD src1_sel:WORD_0
	v_cmp_lt_u32_e64 s1, 14, v16
	global_load_dwordx4 v[39:42], v[39:40], off offset:1160
	v_sub_nc_u16 v33, v17, v33
	global_load_dwordx4 v[43:46], v34, s[8:9] offset:1160
	v_cndmask_b32_e64 v54, 0, 0xe10, s1
	v_and_b32_e32 v33, 0xffff, v33
	v_add3_u32 v51, 0, v54, v51
	v_lshlrev_b32_e32 v34, 4, v33
	global_load_dwordx4 v[47:50], v34, s[8:9] offset:1160
	v_mov_b32_e32 v34, 3
	s_waitcnt vmcnt(0) lgkmcnt(0)
	s_barrier
	buffer_gl0_inv
	v_lshlrev_b32_sdwa v34, v34, v53 dst_sel:DWORD dst_unused:UNUSED_PAD src0_sel:DWORD src1_sel:WORD_0
	v_add3_u32 v34, 0, v52, v34
	v_mul_f32_e32 v52, v36, v3
	v_mul_f32_e32 v36, v36, v2
	;; [unrolled: 1-line block ×4, first 2 shown]
	v_fma_f32 v2, v35, v2, -v52
	v_fmac_f32_e32 v36, v35, v3
	v_fma_f32 v3, v37, v12, -v53
	v_fmac_f32_e32 v38, v37, v13
	v_mul_f32_e32 v35, v42, v15
	v_mul_f32_e32 v37, v42, v14
	v_add_f32_e32 v53, v5, v36
	v_add_f32_e32 v42, v2, v3
	v_sub_f32_e32 v52, v36, v38
	v_add_f32_e32 v36, v36, v38
	v_mul_f32_e32 v55, v44, v11
	v_fma_f32 v14, v41, v14, -v35
	v_fmac_f32_e32 v37, v41, v15
	v_mul_f32_e32 v15, v44, v10
	v_mul_f32_e32 v35, v46, v29
	;; [unrolled: 1-line block ×5, first 2 shown]
	v_add_f32_e32 v40, v4, v2
	v_sub_f32_e32 v54, v2, v3
	v_fma_f32 v4, -0.5, v42, v4
	v_fma_f32 v5, -0.5, v36, v5
	v_fma_f32 v10, v43, v10, -v55
	v_fmac_f32_e32 v15, v43, v11
	v_fma_f32 v28, v45, v28, -v35
	v_fmac_f32_e32 v41, v45, v29
	v_mul_f32_e32 v11, v25, v48
	v_mul_f32_e32 v29, v24, v48
	;; [unrolled: 1-line block ×4, first 2 shown]
	v_fma_f32 v12, v39, v8, -v12
	v_fmac_f32_e32 v13, v39, v9
	v_add_f32_e32 v2, v40, v3
	v_add_f32_e32 v3, v53, v38
	v_fmamk_f32 v8, v52, 0x3f5db3d7, v4
	v_fmamk_f32 v9, v54, 0xbf5db3d7, v5
	v_fma_f32 v24, v24, v47, -v11
	v_fmac_f32_e32 v29, v25, v47
	v_fma_f32 v22, v22, v49, -v35
	v_fmac_f32_e32 v36, v23, v49
	v_add_f32_e32 v23, v0, v10
	v_sub_f32_e32 v35, v15, v41
	v_add_f32_e32 v43, v1, v15
	v_add_f32_e32 v15, v15, v41
	v_add_f32_e32 v38, v6, v12
	v_add_f32_e32 v25, v10, v28
	v_sub_f32_e32 v44, v10, v28
	ds_write2_b64 v30, v[2:3], v[8:9] offset1:150
	v_add_f32_e32 v2, v23, v28
	v_fmac_f32_e32 v1, -0.5, v15
	v_add_f32_e32 v15, v24, v22
	v_add_f32_e32 v28, v29, v36
	;; [unrolled: 1-line block ×3, first 2 shown]
	v_sub_f32_e32 v40, v13, v37
	v_add_f32_e32 v42, v7, v13
	v_add_f32_e32 v13, v13, v37
	v_sub_f32_e32 v12, v12, v14
	v_add_f32_e32 v10, v38, v14
	v_fma_f32 v0, -0.5, v25, v0
	v_add_f32_e32 v14, v20, v24
	v_sub_f32_e32 v25, v29, v36
	v_add_f32_e32 v23, v21, v29
	v_sub_f32_e32 v29, v24, v22
	v_fmac_f32_e32 v20, -0.5, v15
	v_fmac_f32_e32 v21, -0.5, v28
	v_fma_f32 v6, -0.5, v39, v6
	v_fmac_f32_e32 v7, -0.5, v13
	v_fmac_f32_e32 v4, 0xbf5db3d7, v52
	v_fmac_f32_e32 v5, 0x3f5db3d7, v54
	v_add_f32_e32 v22, v14, v22
	v_add_f32_e32 v23, v23, v36
	v_fmamk_f32 v24, v25, 0x3f5db3d7, v20
	v_fmac_f32_e32 v20, 0xbf5db3d7, v25
	v_fmamk_f32 v25, v29, 0xbf5db3d7, v21
	v_fmac_f32_e32 v21, 0x3f5db3d7, v29
	v_add_f32_e32 v11, v42, v37
	v_fmamk_f32 v8, v40, 0x3f5db3d7, v6
	v_fmamk_f32 v9, v12, 0xbf5db3d7, v7
	v_fmac_f32_e32 v6, 0xbf5db3d7, v40
	v_fmac_f32_e32 v7, 0x3f5db3d7, v12
	v_add_f32_e32 v3, v43, v41
	v_fmamk_f32 v12, v35, 0x3f5db3d7, v0
	v_fmamk_f32 v13, v44, 0xbf5db3d7, v1
	v_fmac_f32_e32 v0, 0xbf5db3d7, v35
	v_fmac_f32_e32 v1, 0x3f5db3d7, v44
	ds_write_b64 v30, v[4:5] offset:2400
	ds_write2_b64 v51, v[10:11], v[8:9] offset1:150
	ds_write_b64 v51, v[6:7] offset:2400
	ds_write2_b64 v34, v[2:3], v[12:13] offset1:150
	ds_write_b64 v34, v[0:1] offset:2400
	s_and_saveexec_b32 s1, s0
	s_cbranch_execz .LBB0_25
; %bb.24:
	v_lshl_add_u32 v0, v33, 3, 0
	v_add_nc_u32_e32 v1, 0x1c00, v0
	ds_write2_b64 v1, v[22:23], v[24:25] offset0:4 offset1:154
	ds_write_b64 v0, v[20:21] offset:9600
.LBB0_25:
	s_or_b32 exec_lo, exec_lo, s1
	v_add_nc_u32_e32 v33, 0x800, v30
	v_add_nc_u32_e32 v35, 0x1c00, v30
	v_add_nc_u32_e32 v34, 0x1000, v30
	s_waitcnt lgkmcnt(0)
	s_barrier
	buffer_gl0_inv
	ds_read2_b64 v[4:7], v30 offset1:135
	ds_read2_b64 v[0:3], v33 offset0:14 offset1:194
	ds_read2_b64 v[12:15], v35 offset0:4 offset1:139
	;; [unrolled: 1-line block ×3, first 2 shown]
	ds_read_b64 v[28:29], v30 offset:9360
	s_and_saveexec_b32 s1, s0
	s_cbranch_execz .LBB0_27
; %bb.26:
	ds_read_b64 v[22:23], v30 offset:3240
	ds_read_b64 v[24:25], v30 offset:6840
	;; [unrolled: 1-line block ×3, first 2 shown]
.LBB0_27:
	s_or_b32 exec_lo, exec_lo, s1
	v_add_co_u32 v36, s1, 0x800, v26
	v_add_co_ci_u32_e64 v37, s1, 0, v27, s1
	v_lshlrev_b32_e32 v26, 1, v32
	v_mov_b32_e32 v27, 0
	global_load_dwordx4 v[36:39], v[36:37], off offset:1512
	v_lshlrev_b64 v[40:41], 3, v[26:27]
	v_lshlrev_b32_e32 v26, 1, v31
	v_lshlrev_b64 v[44:45], 3, v[26:27]
	v_add_co_u32 v32, s1, s8, v40
	v_add_co_ci_u32_e64 v40, s1, s9, v41, s1
	v_add_co_u32 v31, s1, 0x800, v32
	v_add_co_ci_u32_e64 v32, s1, 0, v40, s1
	v_add_co_u32 v26, s1, s8, v44
	global_load_dwordx4 v[40:43], v[31:32], off offset:1512
	v_add_co_ci_u32_e64 v32, s1, s9, v45, s1
	v_add_co_u32 v31, s1, 0x800, v26
	v_add_co_ci_u32_e64 v32, s1, 0, v32, s1
	global_load_dwordx4 v[44:47], v[31:32], off offset:1512
	s_waitcnt vmcnt(0) lgkmcnt(0)
	s_barrier
	buffer_gl0_inv
	v_mul_f32_e32 v26, v37, v3
	v_mul_f32_e32 v31, v37, v2
	;; [unrolled: 1-line block ×4, first 2 shown]
	v_fma_f32 v2, v36, v2, -v26
	v_fmac_f32_e32 v31, v36, v3
	v_fma_f32 v3, v38, v12, -v32
	v_fmac_f32_e32 v37, v38, v13
	v_add_f32_e32 v12, v4, v2
	v_add_f32_e32 v32, v5, v31
	;; [unrolled: 1-line block ×3, first 2 shown]
	v_sub_f32_e32 v26, v31, v37
	v_add_f32_e32 v31, v31, v37
	v_sub_f32_e32 v36, v2, v3
	v_add_f32_e32 v2, v12, v3
	v_fma_f32 v4, -0.5, v13, v4
	v_add_f32_e32 v3, v32, v37
	v_fma_f32 v5, -0.5, v31, v5
	v_mul_f32_e32 v31, v41, v9
	v_mul_f32_e32 v32, v41, v8
	;; [unrolled: 1-line block ×4, first 2 shown]
	v_fmamk_f32 v12, v26, 0x3f5db3d7, v4
	v_fmac_f32_e32 v4, 0xbf5db3d7, v26
	v_fmamk_f32 v13, v36, 0xbf5db3d7, v5
	v_fmac_f32_e32 v5, 0x3f5db3d7, v36
	v_fma_f32 v8, v40, v8, -v31
	v_fmac_f32_e32 v32, v40, v9
	v_fma_f32 v9, v42, v14, -v37
	v_mul_f32_e32 v14, v45, v11
	v_mul_f32_e32 v26, v45, v10
	;; [unrolled: 1-line block ×4, first 2 shown]
	v_fmac_f32_e32 v38, v42, v15
	v_fma_f32 v10, v44, v10, -v14
	v_fmac_f32_e32 v26, v44, v11
	v_fma_f32 v14, v46, v28, -v31
	v_fmac_f32_e32 v36, v46, v29
	v_add_f32_e32 v11, v6, v8
	v_add_f32_e32 v29, v7, v32
	;; [unrolled: 1-line block ×4, first 2 shown]
	v_sub_f32_e32 v28, v32, v38
	v_sub_f32_e32 v32, v8, v9
	v_add_f32_e32 v8, v11, v9
	v_add_f32_e32 v9, v29, v38
	v_fmac_f32_e32 v7, -0.5, v31
	v_add_f32_e32 v29, v10, v14
	v_sub_f32_e32 v31, v26, v36
	v_add_f32_e32 v37, v1, v26
	v_add_f32_e32 v26, v26, v36
	v_fma_f32 v6, -0.5, v15, v6
	v_add_f32_e32 v15, v0, v10
	v_sub_f32_e32 v38, v10, v14
	v_fma_f32 v0, -0.5, v29, v0
	v_fmac_f32_e32 v1, -0.5, v26
	v_fmamk_f32 v10, v28, 0x3f5db3d7, v6
	v_fmac_f32_e32 v6, 0xbf5db3d7, v28
	v_fmamk_f32 v11, v32, 0xbf5db3d7, v7
	v_fmac_f32_e32 v7, 0x3f5db3d7, v32
	v_add_f32_e32 v14, v15, v14
	v_add_f32_e32 v15, v37, v36
	v_fmamk_f32 v28, v31, 0x3f5db3d7, v0
	v_fmamk_f32 v29, v38, 0xbf5db3d7, v1
	v_fmac_f32_e32 v0, 0xbf5db3d7, v31
	v_fmac_f32_e32 v1, 0x3f5db3d7, v38
	ds_write2_b64 v30, v[2:3], v[8:9] offset1:135
	ds_write2_b64 v35, v[4:5], v[6:7] offset0:4 offset1:139
	ds_write2_b64 v33, v[14:15], v[12:13] offset0:14 offset1:194
	ds_write2_b64 v34, v[10:11], v[28:29] offset0:73 offset1:208
	ds_write_b64 v30, v[0:1] offset:9360
	s_and_saveexec_b32 s1, s0
	s_cbranch_execz .LBB0_29
; %bb.28:
	v_subrev_nc_u32_e32 v0, 45, v16
	v_cndmask_b32_e64 v0, v0, v17, s0
	v_lshlrev_b32_e32 v26, 1, v0
	v_lshlrev_b64 v[0:1], 3, v[26:27]
	v_add_co_u32 v0, s0, s8, v0
	v_add_co_ci_u32_e64 v1, s0, s9, v1, s0
	v_add_co_u32 v0, s0, 0x800, v0
	v_add_co_ci_u32_e64 v1, s0, 0, v1, s0
	global_load_dwordx4 v[0:3], v[0:1], off offset:1512
	s_waitcnt vmcnt(0)
	v_mul_f32_e32 v4, v25, v1
	v_mul_f32_e32 v5, v24, v1
	v_mul_f32_e32 v6, v20, v3
	v_mul_f32_e32 v1, v21, v3
	v_fma_f32 v3, v24, v0, -v4
	v_fmac_f32_e32 v5, v25, v0
	v_fmac_f32_e32 v6, v21, v2
	v_fma_f32 v2, v20, v2, -v1
	v_add_f32_e32 v9, v22, v3
	v_add_f32_e32 v8, v23, v5
	;; [unrolled: 1-line block ×4, first 2 shown]
	v_sub_f32_e32 v4, v3, v2
	v_sub_f32_e32 v10, v5, v6
	v_add_f32_e32 v3, v8, v6
	v_fma_f32 v1, -0.5, v0, v23
	v_fma_f32 v0, -0.5, v7, v22
	v_add_f32_e32 v2, v9, v2
	v_fmamk_f32 v5, v4, 0x3f5db3d7, v1
	v_fmac_f32_e32 v1, 0xbf5db3d7, v4
	v_fmamk_f32 v4, v10, 0xbf5db3d7, v0
	v_fmac_f32_e32 v0, 0x3f5db3d7, v10
	ds_write_b64 v30, v[2:3] offset:3240
	ds_write_b64 v30, v[0:1] offset:6840
	;; [unrolled: 1-line block ×3, first 2 shown]
.LBB0_29:
	s_or_b32 exec_lo, exec_lo, s1
	s_waitcnt lgkmcnt(0)
	s_barrier
	buffer_gl0_inv
	s_and_saveexec_b32 s0, vcc_lo
	s_cbranch_execz .LBB0_31
; %bb.30:
	v_lshl_add_u32 v22, v16, 3, 0
	v_mov_b32_e32 v17, 0
	v_add_nc_u32_e32 v4, 0x87, v16
	v_add_co_u32 v23, vcc_lo, s2, v18
	ds_read2_b64 v[0:3], v22 offset1:135
	v_lshlrev_b64 v[6:7], 3, v[16:17]
	v_mov_b32_e32 v5, v17
	v_add_co_ci_u32_e32 v24, vcc_lo, s3, v19, vcc_lo
	v_add_nc_u32_e32 v14, 0x800, v22
	v_add_nc_u32_e32 v8, 0x10e, v16
	v_lshlrev_b64 v[4:5], 3, v[4:5]
	v_add_co_u32 v6, vcc_lo, v23, v6
	v_add_co_ci_u32_e32 v7, vcc_lo, v24, v7, vcc_lo
	v_add_nc_u32_e32 v10, 0x195, v16
	v_mov_b32_e32 v9, v17
	v_mov_b32_e32 v11, v17
	v_add_nc_u32_e32 v19, 0x1000, v22
	v_add_co_u32 v12, vcc_lo, v23, v4
	v_add_co_ci_u32_e32 v13, vcc_lo, v24, v5, vcc_lo
	s_waitcnt lgkmcnt(0)
	global_store_dwordx2 v[6:7], v[0:1], off
	ds_read2_b64 v[4:7], v14 offset0:14 offset1:149
	v_lshlrev_b64 v[0:1], 3, v[8:9]
	v_lshlrev_b64 v[14:15], 3, v[10:11]
	ds_read2_b64 v[8:11], v19 offset0:28 offset1:163
	v_add_nc_u32_e32 v18, 0x21c, v16
	v_mov_b32_e32 v19, v17
	v_add_nc_u32_e32 v20, 0x2a3, v16
	v_add_co_u32 v0, vcc_lo, v23, v0
	v_add_co_ci_u32_e32 v1, vcc_lo, v24, v1, vcc_lo
	v_lshlrev_b64 v[18:19], 3, v[18:19]
	v_add_co_u32 v14, vcc_lo, v23, v14
	v_add_co_ci_u32_e32 v15, vcc_lo, v24, v15, vcc_lo
	v_mov_b32_e32 v21, v17
	v_add_co_u32 v18, vcc_lo, v23, v18
	v_add_co_ci_u32_e32 v19, vcc_lo, v24, v19, vcc_lo
	global_store_dwordx2 v[12:13], v[2:3], off
	s_waitcnt lgkmcnt(1)
	global_store_dwordx2 v[0:1], v[4:5], off
	global_store_dwordx2 v[14:15], v[6:7], off
	s_waitcnt lgkmcnt(0)
	global_store_dwordx2 v[18:19], v[8:9], off
	v_lshlrev_b64 v[0:1], 3, v[20:21]
	v_add_nc_u32_e32 v2, 0x1800, v22
	v_add_nc_u32_e32 v4, 0x32a, v16
	v_mov_b32_e32 v5, v17
	v_add_nc_u32_e32 v6, 0x3b1, v16
	v_mov_b32_e32 v7, v17
	v_add_nc_u32_e32 v20, 0x2000, v22
	v_add_co_u32 v8, vcc_lo, v23, v0
	v_add_co_ci_u32_e32 v9, vcc_lo, v24, v1, vcc_lo
	ds_read2_b64 v[0:3], v2 offset0:42 offset1:177
	v_lshlrev_b64 v[12:13], 3, v[4:5]
	v_lshlrev_b64 v[14:15], 3, v[6:7]
	v_add_nc_u32_e32 v18, 0x438, v16
	v_mov_b32_e32 v19, v17
	ds_read2_b64 v[4:7], v20 offset0:56 offset1:191
	v_add_nc_u32_e32 v16, 0x4bf, v16
	v_add_co_u32 v12, vcc_lo, v23, v12
	v_lshlrev_b64 v[18:19], 3, v[18:19]
	v_add_co_ci_u32_e32 v13, vcc_lo, v24, v13, vcc_lo
	v_add_co_u32 v14, vcc_lo, v23, v14
	v_lshlrev_b64 v[16:17], 3, v[16:17]
	v_add_co_ci_u32_e32 v15, vcc_lo, v24, v15, vcc_lo
	v_add_co_u32 v18, vcc_lo, v23, v18
	v_add_co_ci_u32_e32 v19, vcc_lo, v24, v19, vcc_lo
	v_add_co_u32 v16, vcc_lo, v23, v16
	v_add_co_ci_u32_e32 v17, vcc_lo, v24, v17, vcc_lo
	global_store_dwordx2 v[8:9], v[10:11], off
	s_waitcnt lgkmcnt(1)
	global_store_dwordx2 v[12:13], v[0:1], off
	global_store_dwordx2 v[14:15], v[2:3], off
	s_waitcnt lgkmcnt(0)
	global_store_dwordx2 v[18:19], v[4:5], off
	global_store_dwordx2 v[16:17], v[6:7], off
.LBB0_31:
	s_endpgm
	.section	.rodata,"a",@progbits
	.p2align	6, 0x0
	.amdhsa_kernel fft_rtc_fwd_len1350_factors_5_10_3_3_3_wgs_135_tpt_135_halfLds_sp_ip_CI_unitstride_sbrr_C2R_dirReg
		.amdhsa_group_segment_fixed_size 0
		.amdhsa_private_segment_fixed_size 0
		.amdhsa_kernarg_size 88
		.amdhsa_user_sgpr_count 6
		.amdhsa_user_sgpr_private_segment_buffer 1
		.amdhsa_user_sgpr_dispatch_ptr 0
		.amdhsa_user_sgpr_queue_ptr 0
		.amdhsa_user_sgpr_kernarg_segment_ptr 1
		.amdhsa_user_sgpr_dispatch_id 0
		.amdhsa_user_sgpr_flat_scratch_init 0
		.amdhsa_user_sgpr_private_segment_size 0
		.amdhsa_wavefront_size32 1
		.amdhsa_uses_dynamic_stack 0
		.amdhsa_system_sgpr_private_segment_wavefront_offset 0
		.amdhsa_system_sgpr_workgroup_id_x 1
		.amdhsa_system_sgpr_workgroup_id_y 0
		.amdhsa_system_sgpr_workgroup_id_z 0
		.amdhsa_system_sgpr_workgroup_info 0
		.amdhsa_system_vgpr_workitem_id 0
		.amdhsa_next_free_vgpr 62
		.amdhsa_next_free_sgpr 21
		.amdhsa_reserve_vcc 1
		.amdhsa_reserve_flat_scratch 0
		.amdhsa_float_round_mode_32 0
		.amdhsa_float_round_mode_16_64 0
		.amdhsa_float_denorm_mode_32 3
		.amdhsa_float_denorm_mode_16_64 3
		.amdhsa_dx10_clamp 1
		.amdhsa_ieee_mode 1
		.amdhsa_fp16_overflow 0
		.amdhsa_workgroup_processor_mode 1
		.amdhsa_memory_ordered 1
		.amdhsa_forward_progress 0
		.amdhsa_shared_vgpr_count 0
		.amdhsa_exception_fp_ieee_invalid_op 0
		.amdhsa_exception_fp_denorm_src 0
		.amdhsa_exception_fp_ieee_div_zero 0
		.amdhsa_exception_fp_ieee_overflow 0
		.amdhsa_exception_fp_ieee_underflow 0
		.amdhsa_exception_fp_ieee_inexact 0
		.amdhsa_exception_int_div_zero 0
	.end_amdhsa_kernel
	.text
.Lfunc_end0:
	.size	fft_rtc_fwd_len1350_factors_5_10_3_3_3_wgs_135_tpt_135_halfLds_sp_ip_CI_unitstride_sbrr_C2R_dirReg, .Lfunc_end0-fft_rtc_fwd_len1350_factors_5_10_3_3_3_wgs_135_tpt_135_halfLds_sp_ip_CI_unitstride_sbrr_C2R_dirReg
                                        ; -- End function
	.section	.AMDGPU.csdata,"",@progbits
; Kernel info:
; codeLenInByte = 7912
; NumSgprs: 23
; NumVgprs: 62
; ScratchSize: 0
; MemoryBound: 0
; FloatMode: 240
; IeeeMode: 1
; LDSByteSize: 0 bytes/workgroup (compile time only)
; SGPRBlocks: 2
; VGPRBlocks: 7
; NumSGPRsForWavesPerEU: 23
; NumVGPRsForWavesPerEU: 62
; Occupancy: 15
; WaveLimiterHint : 1
; COMPUTE_PGM_RSRC2:SCRATCH_EN: 0
; COMPUTE_PGM_RSRC2:USER_SGPR: 6
; COMPUTE_PGM_RSRC2:TRAP_HANDLER: 0
; COMPUTE_PGM_RSRC2:TGID_X_EN: 1
; COMPUTE_PGM_RSRC2:TGID_Y_EN: 0
; COMPUTE_PGM_RSRC2:TGID_Z_EN: 0
; COMPUTE_PGM_RSRC2:TIDIG_COMP_CNT: 0
	.text
	.p2alignl 6, 3214868480
	.fill 48, 4, 3214868480
	.type	__hip_cuid_e3d5f83ff1d8bdf8,@object ; @__hip_cuid_e3d5f83ff1d8bdf8
	.section	.bss,"aw",@nobits
	.globl	__hip_cuid_e3d5f83ff1d8bdf8
__hip_cuid_e3d5f83ff1d8bdf8:
	.byte	0                               ; 0x0
	.size	__hip_cuid_e3d5f83ff1d8bdf8, 1

	.ident	"AMD clang version 19.0.0git (https://github.com/RadeonOpenCompute/llvm-project roc-6.4.0 25133 c7fe45cf4b819c5991fe208aaa96edf142730f1d)"
	.section	".note.GNU-stack","",@progbits
	.addrsig
	.addrsig_sym __hip_cuid_e3d5f83ff1d8bdf8
	.amdgpu_metadata
---
amdhsa.kernels:
  - .args:
      - .actual_access:  read_only
        .address_space:  global
        .offset:         0
        .size:           8
        .value_kind:     global_buffer
      - .offset:         8
        .size:           8
        .value_kind:     by_value
      - .actual_access:  read_only
        .address_space:  global
        .offset:         16
        .size:           8
        .value_kind:     global_buffer
      - .actual_access:  read_only
        .address_space:  global
        .offset:         24
        .size:           8
        .value_kind:     global_buffer
      - .offset:         32
        .size:           8
        .value_kind:     by_value
      - .actual_access:  read_only
        .address_space:  global
        .offset:         40
        .size:           8
        .value_kind:     global_buffer
      - .actual_access:  read_only
        .address_space:  global
        .offset:         48
        .size:           8
        .value_kind:     global_buffer
      - .offset:         56
        .size:           4
        .value_kind:     by_value
      - .actual_access:  read_only
        .address_space:  global
        .offset:         64
        .size:           8
        .value_kind:     global_buffer
      - .actual_access:  read_only
        .address_space:  global
        .offset:         72
        .size:           8
        .value_kind:     global_buffer
      - .address_space:  global
        .offset:         80
        .size:           8
        .value_kind:     global_buffer
    .group_segment_fixed_size: 0
    .kernarg_segment_align: 8
    .kernarg_segment_size: 88
    .language:       OpenCL C
    .language_version:
      - 2
      - 0
    .max_flat_workgroup_size: 135
    .name:           fft_rtc_fwd_len1350_factors_5_10_3_3_3_wgs_135_tpt_135_halfLds_sp_ip_CI_unitstride_sbrr_C2R_dirReg
    .private_segment_fixed_size: 0
    .sgpr_count:     23
    .sgpr_spill_count: 0
    .symbol:         fft_rtc_fwd_len1350_factors_5_10_3_3_3_wgs_135_tpt_135_halfLds_sp_ip_CI_unitstride_sbrr_C2R_dirReg.kd
    .uniform_work_group_size: 1
    .uses_dynamic_stack: false
    .vgpr_count:     62
    .vgpr_spill_count: 0
    .wavefront_size: 32
    .workgroup_processor_mode: 1
amdhsa.target:   amdgcn-amd-amdhsa--gfx1030
amdhsa.version:
  - 1
  - 2
...

	.end_amdgpu_metadata
